;; amdgpu-corpus repo=ROCm/rocFFT kind=compiled arch=gfx1201 opt=O3
	.text
	.amdgcn_target "amdgcn-amd-amdhsa--gfx1201"
	.amdhsa_code_object_version 6
	.protected	fft_rtc_back_len104_factors_2_13_2_2_wgs_208_tpt_26_halfLds_dim2_sp_ip_CI_sbcc_twdbase8_3step_dirReg ; -- Begin function fft_rtc_back_len104_factors_2_13_2_2_wgs_208_tpt_26_halfLds_dim2_sp_ip_CI_sbcc_twdbase8_3step_dirReg
	.globl	fft_rtc_back_len104_factors_2_13_2_2_wgs_208_tpt_26_halfLds_dim2_sp_ip_CI_sbcc_twdbase8_3step_dirReg
	.p2align	8
	.type	fft_rtc_back_len104_factors_2_13_2_2_wgs_208_tpt_26_halfLds_dim2_sp_ip_CI_sbcc_twdbase8_3step_dirReg,@function
fft_rtc_back_len104_factors_2_13_2_2_wgs_208_tpt_26_halfLds_dim2_sp_ip_CI_sbcc_twdbase8_3step_dirReg: ; @fft_rtc_back_len104_factors_2_13_2_2_wgs_208_tpt_26_halfLds_dim2_sp_ip_CI_sbcc_twdbase8_3step_dirReg
; %bb.0:
	s_load_b128 s[4:7], s[0:1], 0x10
	s_mov_b32 s12, ttmp9
	s_mov_b32 s13, 0
	s_mov_b64 s[16:17], 0
	s_wait_kmcnt 0x0
	s_load_b64 s[10:11], s[4:5], 0x8
	s_load_b64 s[2:3], s[6:7], 0x0
	s_wait_kmcnt 0x0
	s_add_nc_u64 s[4:5], s[10:11], -1
	s_delay_alu instid0(SALU_CYCLE_1) | instskip(NEXT) | instid1(SALU_CYCLE_1)
	s_lshr_b64 s[4:5], s[4:5], 3
	s_add_nc_u64 s[14:15], s[4:5], 1
	s_delay_alu instid0(SALU_CYCLE_1) | instskip(NEXT) | instid1(VALU_DEP_1)
	v_cmp_lt_u64_e64 s4, s[12:13], s[14:15]
	s_and_b32 vcc_lo, exec_lo, s4
	s_cbranch_vccnz .LBB0_2
; %bb.1:
	v_cvt_f32_u32_e32 v1, s14
	s_sub_co_i32 s5, 0, s14
	s_mov_b32 s17, s13
	s_delay_alu instid0(VALU_DEP_1) | instskip(NEXT) | instid1(TRANS32_DEP_1)
	v_rcp_iflag_f32_e32 v1, v1
	v_mul_f32_e32 v1, 0x4f7ffffe, v1
	s_delay_alu instid0(VALU_DEP_1) | instskip(NEXT) | instid1(VALU_DEP_1)
	v_cvt_u32_f32_e32 v1, v1
	v_readfirstlane_b32 s4, v1
	s_delay_alu instid0(VALU_DEP_1) | instskip(NEXT) | instid1(SALU_CYCLE_1)
	s_mul_i32 s5, s5, s4
	s_mul_hi_u32 s5, s4, s5
	s_delay_alu instid0(SALU_CYCLE_1) | instskip(NEXT) | instid1(SALU_CYCLE_1)
	s_add_co_i32 s4, s4, s5
	s_mul_hi_u32 s4, s12, s4
	s_delay_alu instid0(SALU_CYCLE_1) | instskip(SKIP_2) | instid1(SALU_CYCLE_1)
	s_mul_i32 s5, s4, s14
	s_add_co_i32 s8, s4, 1
	s_sub_co_i32 s5, s12, s5
	s_sub_co_i32 s9, s5, s14
	s_cmp_ge_u32 s5, s14
	s_cselect_b32 s4, s8, s4
	s_cselect_b32 s5, s9, s5
	s_add_co_i32 s8, s4, 1
	s_cmp_ge_u32 s5, s14
	s_cselect_b32 s16, s8, s4
.LBB0_2:
	s_load_b128 s[4:7], s[6:7], 0x8
	s_load_b64 s[8:9], s[0:1], 0x50
	s_mul_u64 s[14:15], s[16:17], s[14:15]
	v_lshrrev_b32_e32 v28, 3, v0
	s_wait_alu 0xfffe
	s_sub_nc_u64 s[12:13], s[12:13], s[14:15]
	s_wait_alu 0xfffe
	s_lshl_b64 s[12:13], s[12:13], 3
	s_wait_alu 0xfffe
	v_dual_mov_b32 v2, s13 :: v_dual_and_b32 v27, 7, v0
	s_add_nc_u64 s[14:15], s[12:13], 8
	s_wait_alu 0xfffe
	v_cmp_gt_u64_e64 s18, s[14:15], s[10:11]
	v_cmp_le_u64_e64 s14, s[14:15], s[10:11]
	v_or_b32_e32 v1, s12, v27
	s_delay_alu instid0(VALU_DEP_3)
	s_and_b32 vcc_lo, exec_lo, s18
	s_wait_kmcnt 0x0
	s_mul_u64 s[12:13], s[12:13], s[4:5]
	s_mul_u64 s[6:7], s[6:7], s[16:17]
	s_wait_alu 0xfffe
	s_add_nc_u64 s[6:7], s[6:7], s[12:13]
	s_cbranch_vccz .LBB0_8
; %bb.3:
	s_mov_b32 s12, exec_lo
                                        ; implicit-def: $vgpr29
	v_cmpx_le_u64_e64 s[10:11], v[1:2]
	s_wait_alu 0xfffe
	s_xor_b32 s12, exec_lo, s12
; %bb.4:
	v_add_nc_u32_e32 v29, 26, v28
; %bb.5:
	s_wait_alu 0xfffe
	s_or_saveexec_b32 s12, s12
                                        ; implicit-def: $vgpr20
                                        ; implicit-def: $vgpr16
                                        ; implicit-def: $vgpr3
                                        ; implicit-def: $vgpr18
	s_wait_alu 0xfffe
	s_xor_b32 exec_lo, exec_lo, s12
	s_cbranch_execz .LBB0_7
; %bb.6:
	v_add_nc_u32_e32 v13, 52, v28
	v_mad_co_u64_u32 v[3:4], null, s4, v27, 0
	v_mad_co_u64_u32 v[5:6], null, s2, v28, 0
	s_delay_alu instid0(VALU_DEP_3) | instskip(SKIP_1) | instid1(SALU_CYCLE_1)
	v_mad_co_u64_u32 v[7:8], null, s2, v13, 0
	s_lshl_b64 s[16:17], s[6:7], 3
	s_add_nc_u64 s[16:17], s[8:9], s[16:17]
	s_delay_alu instid0(VALU_DEP_2) | instskip(NEXT) | instid1(VALU_DEP_2)
	v_mad_co_u64_u32 v[9:10], null, s5, v27, v[4:5]
	v_dual_mov_b32 v4, v8 :: v_dual_add_nc_u32 v29, 26, v28
	s_delay_alu instid0(VALU_DEP_3) | instskip(SKIP_1) | instid1(VALU_DEP_3)
	v_mad_co_u64_u32 v[10:11], null, s3, v28, v[6:7]
	v_add_nc_u32_e32 v15, 0x4e, v28
	v_mad_co_u64_u32 v[13:14], null, s3, v13, v[4:5]
	v_mov_b32_e32 v4, v9
	v_mad_co_u64_u32 v[11:12], null, s2, v29, 0
	v_mov_b32_e32 v6, v10
	v_mad_co_u64_u32 v[9:10], null, s2, v15, 0
	s_delay_alu instid0(VALU_DEP_4) | instskip(SKIP_2) | instid1(VALU_DEP_3)
	v_lshlrev_b64_e32 v[3:4], 3, v[3:4]
	v_mov_b32_e32 v8, v13
	v_mad_co_u64_u32 v[12:13], null, s3, v29, v[12:13]
	v_add_co_u32 v13, vcc_lo, s16, v3
	s_delay_alu instid0(VALU_DEP_4) | instskip(SKIP_4) | instid1(VALU_DEP_4)
	v_add_co_ci_u32_e32 v14, vcc_lo, s17, v4, vcc_lo
	v_lshlrev_b64_e32 v[3:4], 3, v[5:6]
	v_mad_co_u64_u32 v[5:6], null, s3, v15, v[10:11]
	v_lshlrev_b64_e32 v[6:7], 3, v[7:8]
	v_lshlrev_b64_e32 v[11:12], 3, v[11:12]
	v_add_co_u32 v3, vcc_lo, v13, v3
	s_wait_alu 0xfffd
	v_add_co_ci_u32_e32 v4, vcc_lo, v14, v4, vcc_lo
	v_mov_b32_e32 v10, v5
	v_add_co_u32 v5, vcc_lo, v13, v6
	s_wait_alu 0xfffd
	v_add_co_ci_u32_e32 v6, vcc_lo, v14, v7, vcc_lo
	s_delay_alu instid0(VALU_DEP_3) | instskip(SKIP_3) | instid1(VALU_DEP_3)
	v_lshlrev_b64_e32 v[7:8], 3, v[9:10]
	v_add_co_u32 v9, vcc_lo, v13, v11
	s_wait_alu 0xfffd
	v_add_co_ci_u32_e32 v10, vcc_lo, v14, v12, vcc_lo
	v_add_co_u32 v7, vcc_lo, v13, v7
	s_wait_alu 0xfffd
	v_add_co_ci_u32_e32 v8, vcc_lo, v14, v8, vcc_lo
	s_clause 0x3
	global_load_b64 v[18:19], v[3:4], off
	global_load_b64 v[3:4], v[5:6], off
	;; [unrolled: 1-line block ×4, first 2 shown]
.LBB0_7:
	s_or_b32 exec_lo, exec_lo, s12
	s_cbranch_execz .LBB0_9
	s_branch .LBB0_10
.LBB0_8:
                                        ; implicit-def: $vgpr20
                                        ; implicit-def: $vgpr16
                                        ; implicit-def: $vgpr3
                                        ; implicit-def: $vgpr18
                                        ; implicit-def: $vgpr29
.LBB0_9:
	v_add_nc_u32_e32 v13, 52, v28
	s_wait_loadcnt 0x2
	v_mad_co_u64_u32 v[3:4], null, s4, v27, 0
	v_mad_co_u64_u32 v[5:6], null, s2, v28, 0
	s_delay_alu instid0(VALU_DEP_3) | instskip(SKIP_3) | instid1(VALU_DEP_2)
	v_mad_co_u64_u32 v[7:8], null, s2, v13, 0
	s_lshl_b64 s[12:13], s[6:7], 3
	s_wait_alu 0xfffe
	s_add_nc_u64 s[12:13], s[8:9], s[12:13]
	v_mad_co_u64_u32 v[9:10], null, s5, v27, v[4:5]
	s_delay_alu instid0(VALU_DEP_2) | instskip(NEXT) | instid1(VALU_DEP_3)
	v_dual_mov_b32 v4, v8 :: v_dual_add_nc_u32 v29, 26, v28
	v_mad_co_u64_u32 v[10:11], null, s3, v28, v[6:7]
	v_add_nc_u32_e32 v15, 0x4e, v28
	s_delay_alu instid0(VALU_DEP_3) | instskip(SKIP_4) | instid1(VALU_DEP_4)
	v_mad_co_u64_u32 v[13:14], null, s3, v13, v[4:5]
	v_mov_b32_e32 v4, v9
	v_mad_co_u64_u32 v[11:12], null, s2, v29, 0
	v_mov_b32_e32 v6, v10
	v_mad_co_u64_u32 v[9:10], null, s2, v15, 0
	v_lshlrev_b64_e32 v[3:4], 3, v[3:4]
	v_mov_b32_e32 v8, v13
	v_mad_co_u64_u32 v[12:13], null, s3, v29, v[12:13]
	s_wait_alu 0xfffe
	s_delay_alu instid0(VALU_DEP_3)
	v_add_co_u32 v13, vcc_lo, s12, v3
	s_wait_alu 0xfffd
	v_add_co_ci_u32_e32 v14, vcc_lo, s13, v4, vcc_lo
	v_lshlrev_b64_e32 v[3:4], 3, v[5:6]
	v_mad_co_u64_u32 v[5:6], null, s3, v15, v[10:11]
	v_lshlrev_b64_e32 v[6:7], 3, v[7:8]
	v_lshlrev_b64_e32 v[11:12], 3, v[11:12]
	s_delay_alu instid0(VALU_DEP_4)
	v_add_co_u32 v3, vcc_lo, v13, v3
	s_wait_alu 0xfffd
	v_add_co_ci_u32_e32 v4, vcc_lo, v14, v4, vcc_lo
	v_mov_b32_e32 v10, v5
	v_add_co_u32 v5, vcc_lo, v13, v6
	s_wait_alu 0xfffd
	v_add_co_ci_u32_e32 v6, vcc_lo, v14, v7, vcc_lo
	s_delay_alu instid0(VALU_DEP_3) | instskip(SKIP_3) | instid1(VALU_DEP_3)
	v_lshlrev_b64_e32 v[7:8], 3, v[9:10]
	v_add_co_u32 v9, vcc_lo, v13, v11
	s_wait_alu 0xfffd
	v_add_co_ci_u32_e32 v10, vcc_lo, v14, v12, vcc_lo
	v_add_co_u32 v7, vcc_lo, v13, v7
	s_wait_alu 0xfffd
	v_add_co_ci_u32_e32 v8, vcc_lo, v14, v8, vcc_lo
	s_clause 0x3
	global_load_b64 v[18:19], v[3:4], off
	global_load_b64 v[3:4], v[5:6], off
	;; [unrolled: 1-line block ×4, first 2 shown]
.LBB0_10:
	s_load_b64 s[12:13], s[0:1], 0x0
	s_wait_loadcnt 0x2
	v_dual_sub_f32 v6, v18, v3 :: v_dual_lshlrev_b32 v3, 6, v28
	s_wait_loadcnt 0x0
	v_dual_sub_f32 v8, v16, v20 :: v_dual_lshlrev_b32 v9, 6, v29
	v_lshlrev_b32_e32 v30, 2, v27
	s_delay_alu instid0(VALU_DEP_3) | instskip(SKIP_1) | instid1(VALU_DEP_4)
	v_fma_f32 v5, v18, 2.0, -v6
	v_cmp_gt_u32_e32 vcc_lo, 64, v0
	v_fma_f32 v7, v16, 2.0, -v8
	v_and_b32_e32 v23, 56, v0
	v_add3_u32 v20, 0, v3, v30
	v_add3_u32 v22, 0, v9, v30
	ds_store_2addr_b32 v20, v5, v6 offset1:8
	ds_store_2addr_b32 v22, v7, v8 offset1:8
	global_wb scope:SCOPE_SE
	s_wait_dscnt 0x0
	s_wait_kmcnt 0x0
	s_barrier_signal -1
	s_barrier_wait -1
	global_inv scope:SCOPE_SE
                                        ; implicit-def: $vgpr9
                                        ; implicit-def: $vgpr11
                                        ; implicit-def: $vgpr47
                                        ; implicit-def: $vgpr14
                                        ; implicit-def: $vgpr16
	s_and_saveexec_b32 s15, vcc_lo
	s_cbranch_execz .LBB0_12
; %bb.11:
	v_lshlrev_b32_e32 v3, 2, v23
	s_delay_alu instid0(VALU_DEP_1)
	v_add3_u32 v3, 0, v3, v30
	ds_load_2addr_stride64_b32 v[5:6], v3 offset1:1
	ds_load_2addr_stride64_b32 v[7:8], v3 offset0:2 offset1:3
	ds_load_2addr_stride64_b32 v[9:10], v3 offset0:4 offset1:5
	;; [unrolled: 1-line block ×5, first 2 shown]
	ds_load_b32 v47, v3 offset:3072
.LBB0_12:
	s_wait_alu 0xfffe
	s_or_b32 exec_lo, exec_lo, s15
	v_sub_f32_e32 v4, v19, v4
	v_sub_f32_e32 v18, v17, v21
	global_wb scope:SCOPE_SE
	s_wait_dscnt 0x0
	s_barrier_signal -1
	s_barrier_wait -1
	v_fma_f32 v3, v19, 2.0, -v4
	v_fma_f32 v17, v17, 2.0, -v18
	global_inv scope:SCOPE_SE
                                        ; implicit-def: $vgpr48
                                        ; implicit-def: $vgpr24
                                        ; implicit-def: $vgpr26
	ds_store_2addr_b32 v20, v3, v4 offset1:8
	ds_store_2addr_b32 v22, v17, v18 offset1:8
	global_wb scope:SCOPE_SE
	s_wait_dscnt 0x0
	s_barrier_signal -1
	s_barrier_wait -1
	global_inv scope:SCOPE_SE
                                        ; implicit-def: $vgpr20
                                        ; implicit-def: $vgpr22
	s_and_saveexec_b32 s15, vcc_lo
	s_cbranch_execz .LBB0_14
; %bb.13:
	v_lshlrev_b32_e32 v3, 2, v23
	s_delay_alu instid0(VALU_DEP_1)
	v_add3_u32 v31, 0, v3, v30
	ds_load_2addr_stride64_b32 v[3:4], v31 offset1:1
	ds_load_2addr_stride64_b32 v[17:18], v31 offset0:2 offset1:3
	ds_load_2addr_stride64_b32 v[25:26], v31 offset0:4 offset1:5
	;; [unrolled: 1-line block ×5, first 2 shown]
	ds_load_b32 v48, v31 offset:3072
.LBB0_14:
	s_wait_alu 0xfffe
	s_or_b32 exec_lo, exec_lo, s15
	v_bfe_u32 v31, v0, 3, 1
	s_delay_alu instid0(VALU_DEP_1) | instskip(NEXT) | instid1(VALU_DEP_1)
	v_mul_u32_u24_e32 v32, 12, v31
	v_lshlrev_b32_e32 v32, 3, v32
	s_clause 0x5
	global_load_b128 v[49:52], v32, s[12:13]
	global_load_b128 v[53:56], v32, s[12:13] offset:16
	global_load_b128 v[57:60], v32, s[12:13] offset:32
	;; [unrolled: 1-line block ×5, first 2 shown]
	global_wb scope:SCOPE_SE
	s_wait_loadcnt_dscnt 0x0
	s_barrier_signal -1
	s_barrier_wait -1
	global_inv scope:SCOPE_SE
	v_dual_mul_f32 v44, v4, v50 :: v_dual_mul_f32 v41, v17, v52
	v_dual_mul_f32 v40, v6, v50 :: v_dual_mul_f32 v43, v7, v52
	;; [unrolled: 1-line block ×5, first 2 shown]
	v_dual_mul_f32 v52, v9, v56 :: v_dual_fmac_f32 v41, v7, v51
	v_dual_mul_f32 v34, v26, v58 :: v_dual_mul_f32 v45, v48, v72
	s_delay_alu instid0(VALU_DEP_3)
	v_dual_mul_f32 v32, v23, v60 :: v_dual_fmac_f32 v37, v16, v65
	v_dual_mul_f32 v56, v11, v60 :: v_dual_fmac_f32 v39, v13, v67
	v_mul_f32_e32 v33, v24, v62
	v_mul_f32_e32 v54, v10, v58
	v_dual_mul_f32 v58, v12, v62 :: v_dual_fmac_f32 v35, v15, v63
	v_mul_f32_e32 v60, v15, v64
	v_dual_mul_f32 v62, v16, v66 :: v_dual_fmac_f32 v45, v47, v71
	v_mul_f32_e32 v64, v13, v68
	v_mul_f32_e32 v42, v20, v70
	;; [unrolled: 1-line block ×4, first 2 shown]
	v_fmac_f32_e32 v44, v6, v49
	v_fma_f32 v46, v4, v49, -v40
	v_fma_f32 v43, v17, v51, -v43
	v_fmac_f32_e32 v38, v8, v53
	v_fma_f32 v40, v18, v53, -v50
	v_fmac_f32_e32 v36, v9, v55
	;; [unrolled: 2-line block ×3, first 2 shown]
	v_fmac_f32_e32 v32, v11, v59
	v_fma_f32 v7, v23, v59, -v56
	v_fmac_f32_e32 v33, v12, v61
	v_fma_f32 v17, v26, v57, -v54
	v_fma_f32 v8, v24, v61, -v58
	;; [unrolled: 1-line block ×5, first 2 shown]
	v_fmac_f32_e32 v42, v14, v69
	v_fma_f32 v15, v20, v69, -v66
	v_fma_f32 v14, v48, v71, -v68
	v_lshrrev_b32_e32 v6, 4, v0
	s_and_saveexec_b32 s15, vcc_lo
	s_cbranch_execz .LBB0_16
; %bb.15:
	s_delay_alu instid0(VALU_DEP_2) | instskip(SKIP_2) | instid1(VALU_DEP_3)
	v_dual_sub_f32 v4, v46, v14 :: v_dual_add_f32 v9, v44, v45
	v_dual_sub_f32 v16, v43, v15 :: v_dual_sub_f32 v21, v40, v13
	v_dual_add_f32 v10, v41, v42 :: v_dual_add_f32 v19, v38, v39
	v_dual_mul_f32 v20, 0xbe750f2a, v4 :: v_dual_sub_f32 v47, v17, v11
	v_dual_add_f32 v22, v36, v37 :: v_dual_sub_f32 v23, v18, v12
	s_delay_alu instid0(VALU_DEP_4) | instskip(NEXT) | instid1(VALU_DEP_3)
	v_mul_f32_e32 v48, 0xbf29c268, v21
	v_fma_f32 v25, 0xbf788fa5, v9, -v20
	v_mul_f32_e32 v24, 0x3eedf032, v16
	v_fmac_f32_e32 v20, 0xbf788fa5, v9
	v_dual_add_f32 v26, v34, v35 :: v_dual_sub_f32 v51, v7, v8
	s_delay_alu instid0(VALU_DEP_4) | instskip(NEXT) | instid1(VALU_DEP_4)
	v_add_f32_e32 v25, v5, v25
	v_fma_f32 v49, 0x3f62ad3f, v10, -v24
	v_mul_f32_e32 v52, 0x3f52af12, v23
	v_fma_f32 v53, 0xbf3f9e67, v19, -v48
	v_add_f32_e32 v50, v32, v33
	s_delay_alu instid0(VALU_DEP_4)
	v_dual_mul_f32 v60, 0xbe750f2a, v16 :: v_dual_add_f32 v25, v49, v25
	v_mul_f32_e32 v49, 0xbf6f5d39, v47
	v_fma_f32 v54, 0x3f116cb1, v22, -v52
	v_fmac_f32_e32 v24, 0x3f62ad3f, v10
	v_mul_f32_e32 v59, 0x3eedf032, v21
	v_add_f32_e32 v25, v53, v25
	v_add_f32_e32 v20, v5, v20
	v_mul_f32_e32 v53, 0xbf29c268, v4
	v_fma_f32 v55, 0xbeb58ec6, v26, -v49
	v_fmac_f32_e32 v49, 0xbeb58ec6, v26
	v_dual_add_f32 v25, v54, v25 :: v_dual_fmac_f32 v48, 0xbf3f9e67, v19
	v_add_f32_e32 v20, v24, v20
	v_fma_f32 v54, 0xbf3f9e67, v9, -v53
	v_fmac_f32_e32 v53, 0xbf3f9e67, v9
	s_delay_alu instid0(VALU_DEP_4) | instskip(NEXT) | instid1(VALU_DEP_4)
	v_dual_mul_f32 v56, 0x3f7e222b, v16 :: v_dual_add_f32 v25, v55, v25
	v_dual_mul_f32 v55, 0xbf52af12, v21 :: v_dual_add_f32 v20, v48, v20
	s_delay_alu instid0(VALU_DEP_4) | instskip(NEXT) | instid1(VALU_DEP_4)
	v_add_f32_e32 v48, v5, v54
	v_dual_mul_f32 v24, 0x3f7e222b, v51 :: v_dual_add_f32 v53, v5, v53
	s_delay_alu instid0(VALU_DEP_4) | instskip(SKIP_2) | instid1(VALU_DEP_4)
	v_fma_f32 v54, 0x3df6dbef, v10, -v56
	v_fmac_f32_e32 v56, 0x3df6dbef, v10
	v_fmac_f32_e32 v52, 0x3f116cb1, v22
	v_fma_f32 v57, 0x3df6dbef, v50, -v24
	s_delay_alu instid0(VALU_DEP_4) | instskip(NEXT) | instid1(VALU_DEP_4)
	v_dual_mul_f32 v63, 0x3f7e222b, v47 :: v_dual_add_f32 v48, v54, v48
	v_add_f32_e32 v53, v56, v53
	s_delay_alu instid0(VALU_DEP_4) | instskip(SKIP_3) | instid1(VALU_DEP_4)
	v_add_f32_e32 v20, v52, v20
	v_fma_f32 v52, 0x3f116cb1, v19, -v55
	v_fmac_f32_e32 v55, 0x3f116cb1, v19
	v_dual_mul_f32 v54, 0x3e750f2a, v23 :: v_dual_add_f32 v25, v57, v25
	v_add_f32_e32 v20, v49, v20
	s_delay_alu instid0(VALU_DEP_3) | instskip(NEXT) | instid1(VALU_DEP_3)
	v_dual_fmac_f32 v24, 0x3df6dbef, v50 :: v_dual_add_f32 v53, v55, v53
	v_fma_f32 v49, 0xbf788fa5, v22, -v54
	v_fmac_f32_e32 v54, 0xbf788fa5, v22
	v_add_f32_e32 v48, v52, v48
	s_delay_alu instid0(VALU_DEP_4)
	v_add_f32_e32 v20, v24, v20
	v_mul_f32_e32 v24, 0xbf6f5d39, v4
	v_mul_f32_e32 v61, 0xbe750f2a, v21
	v_add_f32_e32 v53, v54, v53
	v_mul_f32_e32 v57, 0x3f29c268, v16
	v_add_f32_e32 v48, v49, v48
	v_fma_f32 v56, 0xbeb58ec6, v9, -v24
	v_fmac_f32_e32 v24, 0xbeb58ec6, v9
	s_delay_alu instid0(VALU_DEP_4) | instskip(NEXT) | instid1(VALU_DEP_3)
	v_fma_f32 v58, 0xbf3f9e67, v10, -v57
	v_dual_fmac_f32 v57, 0xbf3f9e67, v10 :: v_dual_add_f32 v56, v5, v56
	s_delay_alu instid0(VALU_DEP_3) | instskip(NEXT) | instid1(VALU_DEP_2)
	v_add_f32_e32 v24, v5, v24
	v_add_f32_e32 v54, v58, v56
	v_mul_f32_e32 v58, 0xbf7e222b, v4
	s_delay_alu instid0(VALU_DEP_3) | instskip(SKIP_1) | instid1(VALU_DEP_3)
	v_add_f32_e32 v24, v57, v24
	v_mul_f32_e32 v56, 0xbf7e222b, v23
	v_fma_f32 v57, 0x3df6dbef, v9, -v58
	v_mul_f32_e32 v52, 0x3eedf032, v47
	v_fmac_f32_e32 v58, 0x3df6dbef, v9
	s_delay_alu instid0(VALU_DEP_2) | instskip(SKIP_1) | instid1(VALU_DEP_2)
	v_fma_f32 v49, 0x3f62ad3f, v26, -v52
	v_fmac_f32_e32 v52, 0x3f62ad3f, v26
	v_dual_add_f32 v48, v49, v48 :: v_dual_mul_f32 v49, 0xbf6f5d39, v51
	s_delay_alu instid0(VALU_DEP_2) | instskip(NEXT) | instid1(VALU_DEP_2)
	v_add_f32_e32 v52, v52, v53
	v_fma_f32 v55, 0xbeb58ec6, v50, -v49
	s_delay_alu instid0(VALU_DEP_1) | instskip(SKIP_1) | instid1(VALU_DEP_2)
	v_dual_fmac_f32 v49, 0xbeb58ec6, v50 :: v_dual_add_f32 v48, v55, v48
	v_fma_f32 v55, 0x3f62ad3f, v19, -v59
	v_add_f32_e32 v49, v49, v52
	v_fmac_f32_e32 v59, 0x3f62ad3f, v19
	s_delay_alu instid0(VALU_DEP_3) | instskip(SKIP_1) | instid1(VALU_DEP_3)
	v_add_f32_e32 v53, v55, v54
	v_fma_f32 v54, 0x3df6dbef, v22, -v56
	v_dual_mul_f32 v55, 0x3e750f2a, v47 :: v_dual_add_f32 v24, v59, v24
	v_fmac_f32_e32 v56, 0x3df6dbef, v22
	v_mul_f32_e32 v59, 0x3f6f5d39, v21
	s_delay_alu instid0(VALU_DEP_4) | instskip(NEXT) | instid1(VALU_DEP_4)
	v_add_f32_e32 v52, v54, v53
	v_fma_f32 v53, 0xbf788fa5, v26, -v55
	v_mul_f32_e32 v54, 0x3f52af12, v51
	v_dual_add_f32 v24, v56, v24 :: v_dual_fmac_f32 v55, 0xbf788fa5, v26
	v_fma_f32 v56, 0xbeb58ec6, v19, -v59
	s_delay_alu instid0(VALU_DEP_4) | instskip(NEXT) | instid1(VALU_DEP_4)
	v_add_f32_e32 v52, v53, v52
	v_fma_f32 v53, 0x3f116cb1, v50, -v54
	s_delay_alu instid0(VALU_DEP_4) | instskip(SKIP_1) | instid1(VALU_DEP_3)
	v_dual_fmac_f32 v59, 0xbeb58ec6, v19 :: v_dual_add_f32 v24, v55, v24
	v_dual_add_f32 v55, v5, v58 :: v_dual_mul_f32 v58, 0xbf52af12, v47
	v_add_f32_e32 v52, v53, v52
	v_add_f32_e32 v53, v5, v57
	v_fma_f32 v57, 0xbf788fa5, v10, -v60
	v_fmac_f32_e32 v60, 0xbf788fa5, v10
	v_mul_f32_e32 v21, 0xbf7e222b, v21
	s_delay_alu instid0(VALU_DEP_3) | instskip(SKIP_1) | instid1(VALU_DEP_4)
	v_add_f32_e32 v53, v57, v53
	v_mul_f32_e32 v57, 0x3eedf032, v23
	v_dual_add_f32 v55, v60, v55 :: v_dual_mul_f32 v60, 0xbf52af12, v4
	s_delay_alu instid0(VALU_DEP_3) | instskip(NEXT) | instid1(VALU_DEP_3)
	v_dual_mul_f32 v4, 0xbeedf032, v4 :: v_dual_add_f32 v53, v56, v53
	v_fma_f32 v56, 0x3f62ad3f, v22, -v57
	v_fmac_f32_e32 v57, 0x3f62ad3f, v22
	s_delay_alu instid0(VALU_DEP_2) | instskip(SKIP_2) | instid1(VALU_DEP_3)
	v_dual_add_f32 v53, v56, v53 :: v_dual_fmac_f32 v54, 0x3f116cb1, v50
	v_fma_f32 v56, 0x3f116cb1, v26, -v58
	v_fmac_f32_e32 v58, 0x3f116cb1, v26
	v_add_f32_e32 v24, v54, v24
	s_delay_alu instid0(VALU_DEP_3) | instskip(SKIP_3) | instid1(VALU_DEP_4)
	v_dual_add_f32 v54, v59, v55 :: v_dual_add_f32 v53, v56, v53
	v_fma_f32 v55, 0x3f116cb1, v9, -v60
	v_mul_f32_e32 v56, 0xbf6f5d39, v16
	v_fmac_f32_e32 v60, 0x3f116cb1, v9
	v_dual_mul_f32 v59, 0xbf29c268, v51 :: v_dual_add_f32 v54, v57, v54
	s_delay_alu instid0(VALU_DEP_4) | instskip(NEXT) | instid1(VALU_DEP_4)
	v_add_f32_e32 v55, v5, v55
	v_fma_f32 v57, 0xbeb58ec6, v10, -v56
	s_delay_alu instid0(VALU_DEP_4) | instskip(SKIP_4) | instid1(VALU_DEP_4)
	v_add_f32_e32 v60, v5, v60
	v_fmac_f32_e32 v56, 0xbeb58ec6, v10
	v_fma_f32 v62, 0xbf3f9e67, v50, -v59
	v_add_f32_e32 v54, v58, v54
	v_mul_f32_e32 v58, 0x3f29c268, v23
	v_dual_fmac_f32 v59, 0xbf3f9e67, v50 :: v_dual_add_f32 v56, v56, v60
	v_dual_mul_f32 v23, 0xbf6f5d39, v23 :: v_dual_add_f32 v60, v5, v44
	s_delay_alu instid0(VALU_DEP_2) | instskip(SKIP_2) | instid1(VALU_DEP_4)
	v_dual_add_f32 v55, v57, v55 :: v_dual_add_f32 v54, v59, v54
	v_fma_f32 v57, 0xbf788fa5, v19, -v61
	v_fmac_f32_e32 v61, 0xbf788fa5, v19
	v_add_f32_e32 v59, v60, v41
	v_fma_f32 v60, 0x3f62ad3f, v9, -v4
	s_delay_alu instid0(VALU_DEP_4) | instskip(NEXT) | instid1(VALU_DEP_3)
	v_dual_fmac_f32 v4, 0x3f62ad3f, v9 :: v_dual_add_f32 v55, v57, v55
	v_add_f32_e32 v59, v59, v38
	s_delay_alu instid0(VALU_DEP_3) | instskip(NEXT) | instid1(VALU_DEP_3)
	v_add_f32_e32 v9, v5, v60
	v_add_f32_e32 v4, v5, v4
	s_delay_alu instid0(VALU_DEP_3) | instskip(NEXT) | instid1(VALU_DEP_1)
	v_add_f32_e32 v59, v59, v36
	v_add_f32_e32 v59, v59, v34
	s_delay_alu instid0(VALU_DEP_1) | instskip(NEXT) | instid1(VALU_DEP_1)
	v_add_f32_e32 v5, v59, v32
	v_add_f32_e32 v5, v5, v33
	v_fma_f32 v57, 0xbf3f9e67, v22, -v58
	s_delay_alu instid0(VALU_DEP_2) | instskip(NEXT) | instid1(VALU_DEP_2)
	v_dual_add_f32 v5, v5, v35 :: v_dual_fmac_f32 v58, 0xbf3f9e67, v22
	v_add_f32_e32 v55, v57, v55
	v_fma_f32 v57, 0x3df6dbef, v26, -v63
	v_fmac_f32_e32 v63, 0x3df6dbef, v26
	s_delay_alu instid0(VALU_DEP_4) | instskip(NEXT) | instid1(VALU_DEP_3)
	v_add_f32_e32 v5, v5, v37
	v_add_f32_e32 v55, v57, v55
	v_mul_f32_e32 v57, 0x3eedf032, v51
	s_delay_alu instid0(VALU_DEP_3) | instskip(NEXT) | instid1(VALU_DEP_1)
	v_dual_add_f32 v5, v5, v39 :: v_dual_mul_f32 v16, 0xbf52af12, v16
	v_add_f32_e32 v5, v5, v42
	s_delay_alu instid0(VALU_DEP_2)
	v_fma_f32 v60, 0x3f116cb1, v10, -v16
	v_fmac_f32_e32 v16, 0x3f116cb1, v10
	v_fma_f32 v10, 0x3df6dbef, v19, -v21
	v_fmac_f32_e32 v21, 0x3df6dbef, v19
	v_add_f32_e32 v5, v5, v45
	v_add_f32_e32 v9, v60, v9
	;; [unrolled: 1-line block ×3, first 2 shown]
	v_fma_f32 v16, 0xbeb58ec6, v22, -v23
	v_fmac_f32_e32 v23, 0xbeb58ec6, v22
	v_mul_u32_u24_e32 v22, 26, v6
	v_dual_add_f32 v9, v10, v9 :: v_dual_mul_f32 v10, 0xbf29c268, v47
	s_delay_alu instid0(VALU_DEP_1) | instskip(NEXT) | instid1(VALU_DEP_2)
	v_dual_add_f32 v56, v61, v56 :: v_dual_add_f32 v9, v16, v9
	v_fma_f32 v19, 0xbf3f9e67, v26, -v10
	s_delay_alu instid0(VALU_DEP_4) | instskip(NEXT) | instid1(VALU_DEP_2)
	v_or_b32_e32 v16, v22, v31
	v_add_f32_e32 v9, v19, v9
	v_dual_add_f32 v19, v62, v53 :: v_dual_add_f32 v4, v21, v4
	v_dual_mul_f32 v21, 0xbe750f2a, v51 :: v_dual_add_f32 v56, v58, v56
	v_fma_f32 v58, 0x3f62ad3f, v50, -v57
	s_delay_alu instid0(VALU_DEP_3) | instskip(NEXT) | instid1(VALU_DEP_3)
	v_dual_fmac_f32 v57, 0x3f62ad3f, v50 :: v_dual_add_f32 v4, v23, v4
	v_fma_f32 v22, 0xbf788fa5, v50, -v21
	s_delay_alu instid0(VALU_DEP_4) | instskip(NEXT) | instid1(VALU_DEP_2)
	v_dual_fmac_f32 v21, 0xbf788fa5, v50 :: v_dual_add_f32 v56, v63, v56
	v_dual_add_f32 v9, v22, v9 :: v_dual_fmac_f32 v10, 0xbf3f9e67, v26
	s_delay_alu instid0(VALU_DEP_1) | instskip(SKIP_1) | instid1(VALU_DEP_4)
	v_add_f32_e32 v4, v10, v4
	v_lshlrev_b32_e32 v10, 5, v16
	v_add_f32_e32 v16, v57, v56
	s_delay_alu instid0(VALU_DEP_3) | instskip(NEXT) | instid1(VALU_DEP_3)
	v_add_f32_e32 v4, v21, v4
	v_add3_u32 v10, 0, v10, v30
	v_add_f32_e32 v21, v58, v55
	ds_store_2addr_b32 v10, v5, v4 offset1:16
	ds_store_2addr_b32 v10, v16, v54 offset0:32 offset1:48
	ds_store_2addr_b32 v10, v24, v49 offset0:64 offset1:80
	;; [unrolled: 1-line block ×5, first 2 shown]
	ds_store_b32 v10, v9 offset:768
.LBB0_16:
	s_wait_alu 0xfffe
	s_or_b32 exec_lo, exec_lo, s15
	v_lshlrev_b32_e32 v4, 5, v28
	global_wb scope:SCOPE_SE
	s_wait_dscnt 0x0
	s_barrier_signal -1
	s_barrier_wait -1
	global_inv scope:SCOPE_SE
	v_add3_u32 v9, 0, v4, v30
	v_lshlrev_b32_e32 v4, 5, v29
	s_delay_alu instid0(VALU_DEP_2) | instskip(NEXT) | instid1(VALU_DEP_2)
	v_add_nc_u32_e32 v16, 0x600, v9
	v_add3_u32 v10, 0, v4, v30
	ds_load_2addr_b32 v[4:5], v16 offset0:32 offset1:240
	ds_load_b32 v19, v9
	ds_load_b32 v20, v10
	global_wb scope:SCOPE_SE
	s_wait_dscnt 0x0
	s_barrier_signal -1
	s_barrier_wait -1
	global_inv scope:SCOPE_SE
	s_and_saveexec_b32 s15, vcc_lo
	s_cbranch_execz .LBB0_18
; %bb.17:
	v_dual_add_f32 v24, v43, v15 :: v_dual_sub_f32 v25, v41, v42
	v_add_f32_e32 v21, v3, v46
	v_dual_add_f32 v22, v46, v14 :: v_dual_sub_f32 v23, v44, v45
	s_delay_alu instid0(VALU_DEP_3) | instskip(SKIP_1) | instid1(VALU_DEP_3)
	v_mul_f32_e32 v46, 0xbeb58ec6, v24
	v_mul_u32_u24_e32 v6, 26, v6
	v_dual_add_f32 v21, v21, v43 :: v_dual_mul_f32 v26, 0x3f62ad3f, v22
	v_mul_f32_e32 v42, 0x3df6dbef, v22
	v_sub_f32_e32 v38, v38, v39
	s_delay_alu instid0(VALU_DEP_4) | instskip(NEXT) | instid1(VALU_DEP_4)
	v_or_b32_e32 v6, v6, v31
	v_add_f32_e32 v21, v21, v40
	v_mul_f32_e32 v48, 0xbf3f9e67, v24
	v_fmamk_f32 v51, v23, 0x3f7e222b, v42
	v_dual_mul_f32 v47, 0xbf788fa5, v24 :: v_dual_sub_f32 v36, v36, v37
	s_delay_alu instid0(VALU_DEP_4) | instskip(NEXT) | instid1(VALU_DEP_3)
	v_add_f32_e32 v21, v21, v18
	v_dual_mul_f32 v44, 0xbf3f9e67, v22 :: v_dual_add_f32 v51, v3, v51
	v_fmamk_f32 v49, v23, 0x3eedf032, v26
	s_delay_alu instid0(VALU_DEP_3) | instskip(NEXT) | instid1(VALU_DEP_3)
	v_dual_fmac_f32 v42, 0xbf7e222b, v23 :: v_dual_add_f32 v21, v21, v17
	v_fmamk_f32 v53, v23, 0x3f29c268, v44
	v_fmac_f32_e32 v44, 0xbf29c268, v23
	v_mul_f32_e32 v43, 0xbeb58ec6, v22
	v_add_f32_e32 v49, v3, v49
	v_add_f32_e32 v21, v21, v7
	v_fmac_f32_e32 v26, 0xbeedf032, v23
	v_add_f32_e32 v44, v3, v44
	v_fmamk_f32 v52, v23, 0x3f6f5d39, v43
	v_mul_f32_e32 v41, 0x3f116cb1, v22
	v_dual_mul_f32 v22, 0xbf788fa5, v22 :: v_dual_add_f32 v21, v21, v8
	v_dual_mul_f32 v45, 0x3f116cb1, v24 :: v_dual_add_f32 v26, v3, v26
	s_delay_alu instid0(VALU_DEP_4) | instskip(NEXT) | instid1(VALU_DEP_3)
	v_add_f32_e32 v52, v3, v52
	v_dual_fmamk_f32 v50, v23, 0x3f52af12, v41 :: v_dual_add_f32 v21, v21, v11
	v_fmac_f32_e32 v41, 0xbf52af12, v23
	v_dual_fmac_f32 v43, 0xbf6f5d39, v23 :: v_dual_add_f32 v42, v3, v42
	s_delay_alu instid0(VALU_DEP_3) | instskip(SKIP_1) | instid1(VALU_DEP_4)
	v_dual_add_f32 v50, v3, v50 :: v_dual_add_f32 v21, v21, v12
	v_fmamk_f32 v54, v23, 0x3e750f2a, v22
	v_dual_fmac_f32 v22, 0xbe750f2a, v23 :: v_dual_add_f32 v41, v3, v41
	v_fmamk_f32 v23, v25, 0x3f52af12, v45
	s_delay_alu instid0(VALU_DEP_4) | instskip(SKIP_3) | instid1(VALU_DEP_4)
	v_add_f32_e32 v21, v21, v13
	v_fmamk_f32 v55, v25, 0x3f6f5d39, v46
	v_dual_fmac_f32 v46, 0xbf6f5d39, v25 :: v_dual_add_f32 v43, v3, v43
	v_add_f32_e32 v53, v3, v53
	v_add_f32_e32 v15, v21, v15
	v_fmac_f32_e32 v45, 0xbf52af12, v25
	s_delay_alu instid0(VALU_DEP_4)
	v_dual_add_f32 v41, v46, v41 :: v_dual_mul_f32 v46, 0x3df6dbef, v24
	v_add_f32_e32 v21, v3, v54
	v_dual_add_f32 v3, v3, v22 :: v_dual_mul_f32 v24, 0x3f62ad3f, v24
	v_add_f32_e32 v22, v23, v49
	v_add_f32_e32 v14, v15, v14
	;; [unrolled: 1-line block ×3, first 2 shown]
	v_dual_fmamk_f32 v26, v25, 0x3e750f2a, v47 :: v_dual_add_f32 v13, v40, v13
	v_fmamk_f32 v40, v25, 0xbf7e222b, v46
	v_fmac_f32_e32 v46, 0x3f7e222b, v25
	v_add_f32_e32 v12, v18, v12
	s_delay_alu instid0(VALU_DEP_4) | instskip(SKIP_2) | instid1(VALU_DEP_3)
	v_dual_add_f32 v26, v26, v51 :: v_dual_fmac_f32 v47, 0xbe750f2a, v25
	v_mul_f32_e32 v39, 0x3df6dbef, v13
	v_dual_add_f32 v15, v55, v50 :: v_dual_add_f32 v40, v40, v53
	v_dual_add_f32 v11, v17, v11 :: v_dual_add_f32 v42, v47, v42
	v_fmamk_f32 v45, v25, 0xbf29c268, v48
	v_fmac_f32_e32 v48, 0x3f29c268, v25
	v_fmamk_f32 v47, v25, 0xbeedf032, v24
	v_dual_fmac_f32 v24, 0x3eedf032, v25 :: v_dual_add_f32 v25, v46, v44
	v_fmamk_f32 v44, v38, 0x3f7e222b, v39
	s_delay_alu instid0(VALU_DEP_4) | instskip(NEXT) | instid1(VALU_DEP_3)
	v_dual_mul_f32 v46, 0xbf788fa5, v13 :: v_dual_add_f32 v43, v48, v43
	v_add_f32_e32 v3, v24, v3
	v_fmac_f32_e32 v39, 0xbf7e222b, v38
	s_delay_alu instid0(VALU_DEP_4) | instskip(NEXT) | instid1(VALU_DEP_4)
	v_add_f32_e32 v22, v44, v22
	v_fmamk_f32 v24, v38, 0x3e750f2a, v46
	v_mul_f32_e32 v44, 0xbeb58ec6, v13
	s_delay_alu instid0(VALU_DEP_4) | instskip(SKIP_1) | instid1(VALU_DEP_3)
	v_dual_fmac_f32 v46, 0xbe750f2a, v38 :: v_dual_add_f32 v23, v39, v23
	v_mul_f32_e32 v39, 0x3f62ad3f, v13
	v_dual_add_f32 v15, v24, v15 :: v_dual_fmamk_f32 v24, v38, 0xbf6f5d39, v44
	s_delay_alu instid0(VALU_DEP_3) | instskip(NEXT) | instid1(VALU_DEP_3)
	v_dual_add_f32 v41, v46, v41 :: v_dual_fmac_f32 v44, 0x3f6f5d39, v38
	v_fmamk_f32 v46, v38, 0xbeedf032, v39
	v_sub_f32_e32 v34, v34, v35
	s_delay_alu instid0(VALU_DEP_4) | instskip(SKIP_4) | instid1(VALU_DEP_4)
	v_add_f32_e32 v24, v24, v26
	v_mul_f32_e32 v26, 0x3f116cb1, v13
	v_dual_add_f32 v42, v44, v42 :: v_dual_add_f32 v45, v45, v52
	v_mul_f32_e32 v13, 0xbf3f9e67, v13
	v_mul_f32_e32 v37, 0xbeb58ec6, v12
	v_fmamk_f32 v18, v38, 0x3f52af12, v26
	s_delay_alu instid0(VALU_DEP_4) | instskip(SKIP_2) | instid1(VALU_DEP_4)
	v_dual_mul_f32 v35, 0xbf3f9e67, v11 :: v_dual_add_f32 v44, v46, v45
	v_add_f32_e32 v21, v47, v21
	v_add_f32_e32 v7, v7, v8
	;; [unrolled: 1-line block ×3, first 2 shown]
	v_fmamk_f32 v40, v38, 0x3f29c268, v13
	v_fmac_f32_e32 v13, 0xbf29c268, v38
	v_fmac_f32_e32 v39, 0x3eedf032, v38
	v_dual_mul_f32 v31, 0xbeb58ec6, v7 :: v_dual_lshlrev_b32 v6, 5, v6
	s_delay_alu instid0(VALU_DEP_3) | instskip(SKIP_1) | instid1(VALU_DEP_3)
	v_dual_add_f32 v3, v13, v3 :: v_dual_fmac_f32 v26, 0xbf52af12, v38
	v_dual_add_f32 v21, v40, v21 :: v_dual_mul_f32 v38, 0xbf3f9e67, v12
	v_add3_u32 v6, 0, v6, v30
	s_delay_alu instid0(VALU_DEP_3) | instskip(NEXT) | instid1(VALU_DEP_1)
	v_dual_add_f32 v25, v26, v25 :: v_dual_fmamk_f32 v26, v36, 0x3f6f5d39, v37
	v_dual_add_f32 v13, v26, v22 :: v_dual_mul_f32 v26, 0x3f62ad3f, v12
	s_delay_alu instid0(VALU_DEP_4) | instskip(NEXT) | instid1(VALU_DEP_1)
	v_fmamk_f32 v22, v36, 0xbf29c268, v38
	v_dual_add_f32 v15, v22, v15 :: v_dual_fmamk_f32 v22, v36, 0xbeedf032, v26
	v_fmac_f32_e32 v26, 0x3eedf032, v36
	s_delay_alu instid0(VALU_DEP_2) | instskip(SKIP_1) | instid1(VALU_DEP_3)
	v_add_f32_e32 v22, v22, v24
	v_mul_f32_e32 v24, 0xbf788fa5, v12
	v_dual_add_f32 v26, v26, v42 :: v_dual_fmac_f32 v37, 0xbf6f5d39, v36
	v_fmac_f32_e32 v38, 0x3f29c268, v36
	s_delay_alu instid0(VALU_DEP_3) | instskip(NEXT) | instid1(VALU_DEP_3)
	v_fmamk_f32 v17, v36, 0xbe750f2a, v24
	v_dual_add_f32 v23, v37, v23 :: v_dual_fmac_f32 v24, 0x3e750f2a, v36
	v_mul_f32_e32 v37, 0x3df6dbef, v12
	s_delay_alu instid0(VALU_DEP_3) | instskip(SKIP_1) | instid1(VALU_DEP_4)
	v_dual_mul_f32 v12, 0x3f116cb1, v12 :: v_dual_add_f32 v17, v17, v18
	v_add_f32_e32 v38, v38, v41
	v_add_f32_e32 v24, v24, v25
	s_delay_alu instid0(VALU_DEP_4) | instskip(NEXT) | instid1(VALU_DEP_4)
	v_fmamk_f32 v40, v36, 0x3f7e222b, v37
	v_fmamk_f32 v18, v36, 0xbf52af12, v12
	v_fmac_f32_e32 v37, 0xbf7e222b, v36
	s_delay_alu instid0(VALU_DEP_3) | instskip(SKIP_1) | instid1(VALU_DEP_4)
	v_dual_add_f32 v39, v39, v43 :: v_dual_add_f32 v40, v40, v44
	v_fmamk_f32 v25, v34, 0x3f29c268, v35
	v_dual_add_f32 v18, v18, v21 :: v_dual_mul_f32 v21, 0x3f116cb1, v11
	v_fmac_f32_e32 v12, 0x3f52af12, v36
	v_mul_f32_e32 v36, 0x3df6dbef, v11
	v_add_f32_e32 v37, v37, v39
	v_fmac_f32_e32 v35, 0xbf29c268, v34
	s_delay_alu instid0(VALU_DEP_4) | instskip(NEXT) | instid1(VALU_DEP_4)
	v_dual_add_f32 v3, v12, v3 :: v_dual_add_f32 v12, v25, v13
	v_fmamk_f32 v13, v34, 0xbf7e222b, v36
	s_delay_alu instid0(VALU_DEP_3) | instskip(NEXT) | instid1(VALU_DEP_2)
	v_add_f32_e32 v23, v35, v23
	v_add_f32_e32 v13, v13, v15
	v_fmamk_f32 v15, v34, 0x3f52af12, v21
	v_fmac_f32_e32 v21, 0xbf52af12, v34
	s_delay_alu instid0(VALU_DEP_2) | instskip(SKIP_1) | instid1(VALU_DEP_3)
	v_add_f32_e32 v15, v15, v22
	v_fmac_f32_e32 v36, 0x3f7e222b, v34
	v_add_f32_e32 v21, v21, v26
	s_delay_alu instid0(VALU_DEP_2) | instskip(NEXT) | instid1(VALU_DEP_1)
	v_dual_add_f32 v35, v36, v38 :: v_dual_mul_f32 v38, 0x3f62ad3f, v11
	v_fmamk_f32 v26, v34, 0xbeedf032, v38
	v_fmac_f32_e32 v38, 0x3eedf032, v34
	v_mul_f32_e32 v25, 0xbf788fa5, v11
	s_delay_alu instid0(VALU_DEP_3) | instskip(SKIP_1) | instid1(VALU_DEP_2)
	v_dual_mul_f32 v11, 0xbeb58ec6, v11 :: v_dual_add_f32 v8, v26, v17
	v_dual_sub_f32 v26, v32, v33 :: v_dual_mul_f32 v33, 0x3f62ad3f, v7
	v_fmamk_f32 v17, v34, 0x3f6f5d39, v11
	v_fmac_f32_e32 v11, 0xbf6f5d39, v34
	s_delay_alu instid0(VALU_DEP_2) | instskip(NEXT) | instid1(VALU_DEP_2)
	v_dual_mul_f32 v32, 0xbf788fa5, v7 :: v_dual_add_f32 v17, v17, v18
	v_dual_add_f32 v3, v11, v3 :: v_dual_add_f32 v24, v38, v24
	v_fmamk_f32 v36, v34, 0xbe750f2a, v25
	s_delay_alu instid0(VALU_DEP_3) | instskip(SKIP_2) | instid1(VALU_DEP_4)
	v_dual_fmac_f32 v25, 0x3e750f2a, v34 :: v_dual_fmamk_f32 v18, v26, 0x3e750f2a, v32
	v_fmamk_f32 v11, v26, 0xbeedf032, v33
	v_fmac_f32_e32 v32, 0xbe750f2a, v26
	v_add_f32_e32 v22, v36, v40
	v_mul_f32_e32 v34, 0xbf3f9e67, v7
	s_delay_alu instid0(VALU_DEP_4) | instskip(NEXT) | instid1(VALU_DEP_4)
	v_dual_add_f32 v12, v18, v12 :: v_dual_add_f32 v11, v11, v13
	v_add_f32_e32 v18, v32, v23
	v_mul_f32_e32 v23, 0x3f116cb1, v7
	s_delay_alu instid0(VALU_DEP_4) | instskip(SKIP_3) | instid1(VALU_DEP_4)
	v_fmamk_f32 v13, v26, 0x3f29c268, v34
	v_dual_fmac_f32 v34, 0xbf29c268, v26 :: v_dual_add_f32 v25, v25, v37
	v_mul_f32_e32 v7, 0x3df6dbef, v7
	v_fmac_f32_e32 v33, 0x3eedf032, v26
	v_add_f32_e32 v13, v13, v15
	s_delay_alu instid0(VALU_DEP_4) | instskip(SKIP_1) | instid1(VALU_DEP_4)
	v_add_f32_e32 v15, v34, v21
	v_fmamk_f32 v21, v26, 0xbf52af12, v23
	v_dual_fmac_f32 v23, 0x3f52af12, v26 :: v_dual_add_f32 v32, v33, v35
	s_delay_alu instid0(VALU_DEP_1) | instskip(SKIP_3) | instid1(VALU_DEP_3)
	v_dual_add_f32 v21, v21, v22 :: v_dual_add_f32 v22, v23, v25
	v_fmamk_f32 v23, v26, 0x3f6f5d39, v31
	v_fmamk_f32 v25, v26, 0xbf7e222b, v7
	v_fmac_f32_e32 v7, 0x3f7e222b, v26
	v_dual_fmac_f32 v31, 0xbf6f5d39, v26 :: v_dual_add_f32 v8, v23, v8
	s_delay_alu instid0(VALU_DEP_3) | instskip(NEXT) | instid1(VALU_DEP_3)
	v_add_f32_e32 v17, v25, v17
	v_add_f32_e32 v3, v7, v3
	s_delay_alu instid0(VALU_DEP_3)
	v_add_f32_e32 v7, v31, v24
	ds_store_2addr_b32 v6, v14, v12 offset1:16
	ds_store_2addr_b32 v6, v11, v13 offset0:32 offset1:48
	ds_store_2addr_b32 v6, v21, v8 offset0:64 offset1:80
	;; [unrolled: 1-line block ×5, first 2 shown]
	ds_store_b32 v6, v18 offset:768
.LBB0_18:
	s_wait_alu 0xfffe
	s_or_b32 exec_lo, exec_lo, s15
	v_and_b32_e32 v3, 0xff, v29
	v_mul_lo_u16 v6, v28, 10
	global_wb scope:SCOPE_SE
	s_wait_dscnt 0x0
	s_barrier_signal -1
	s_barrier_wait -1
	v_mul_lo_u16 v7, 0x4f, v3
	v_lshrrev_b16 v3, 8, v6
	global_inv scope:SCOPE_SE
	v_cmp_gt_u64_e32 vcc_lo, s[10:11], v[1:2]
	v_lshrrev_b16 v6, 11, v7
	v_mul_lo_u16 v8, v3, 26
	v_and_b32_e32 v3, 0xffff, v3
	s_or_b32 s10, s14, vcc_lo
	s_delay_alu instid0(VALU_DEP_3) | instskip(NEXT) | instid1(VALU_DEP_3)
	v_mul_lo_u16 v11, v6, 26
	v_sub_nc_u16 v8, v28, v8
	s_delay_alu instid0(VALU_DEP_3) | instskip(NEXT) | instid1(VALU_DEP_3)
	v_mul_u32_u24_e32 v3, 52, v3
	v_sub_nc_u16 v11, v29, v11
	s_delay_alu instid0(VALU_DEP_3) | instskip(NEXT) | instid1(VALU_DEP_2)
	v_and_b32_e32 v8, 0xff, v8
	v_and_b32_e32 v15, 0xff, v11
	s_delay_alu instid0(VALU_DEP_2) | instskip(NEXT) | instid1(VALU_DEP_2)
	v_lshlrev_b32_e32 v11, 3, v8
	v_lshlrev_b32_e32 v13, 3, v15
	s_clause 0x1
	global_load_b64 v[11:12], v11, s[12:13] offset:192
	global_load_b64 v[13:14], v13, s[12:13] offset:192
	ds_load_2addr_b32 v[17:18], v16 offset0:32 offset1:240
	ds_load_b32 v22, v9
	ds_load_b32 v23, v10
	global_wb scope:SCOPE_SE
	s_wait_loadcnt_dscnt 0x0
	s_barrier_signal -1
	s_barrier_wait -1
	global_inv scope:SCOPE_SE
	v_mul_f32_e32 v21, v18, v14
	v_and_b32_e32 v6, 0xffff, v6
	v_add_lshl_u32 v3, v3, v8, 5
	v_mul_f32_e32 v8, v17, v12
	s_delay_alu instid0(VALU_DEP_4) | instskip(NEXT) | instid1(VALU_DEP_4)
	v_fmac_f32_e32 v21, v5, v13
	v_mul_u32_u24_e32 v6, 52, v6
	s_delay_alu instid0(VALU_DEP_4) | instskip(NEXT) | instid1(VALU_DEP_4)
	v_add3_u32 v24, 0, v3, v30
	v_fmac_f32_e32 v8, v4, v11
	s_delay_alu instid0(VALU_DEP_3) | instskip(NEXT) | instid1(VALU_DEP_2)
	v_add_lshl_u32 v3, v6, v15, 5
	v_sub_f32_e32 v6, v19, v8
	v_sub_f32_e32 v8, v20, v21
	s_delay_alu instid0(VALU_DEP_3) | instskip(SKIP_1) | instid1(VALU_DEP_4)
	v_add3_u32 v15, 0, v3, v30
	v_dual_mul_f32 v3, v4, v12 :: v_dual_mul_f32 v4, v5, v14
	v_fma_f32 v5, v19, 2.0, -v6
	s_delay_alu instid0(VALU_DEP_4)
	v_fma_f32 v12, v20, 2.0, -v8
	ds_store_2addr_b32 v24, v5, v6 offset1:208
	ds_store_2addr_b32 v15, v12, v8 offset1:208
	v_fma_f32 v11, v17, v11, -v3
	v_fma_f32 v13, v18, v13, -v4
	global_wb scope:SCOPE_SE
	s_wait_dscnt 0x0
	s_barrier_signal -1
	s_barrier_wait -1
	v_sub_f32_e32 v8, v22, v11
	global_inv scope:SCOPE_SE
	ds_load_2addr_b32 v[3:4], v16 offset0:32 offset1:240
	ds_load_b32 v6, v9
	ds_load_b32 v5, v10
	v_sub_f32_e32 v11, v23, v13
	global_wb scope:SCOPE_SE
	s_wait_dscnt 0x0
	v_fma_f32 v12, v22, 2.0, -v8
	s_barrier_signal -1
	s_barrier_wait -1
	v_fma_f32 v13, v23, 2.0, -v11
	global_inv scope:SCOPE_SE
	ds_store_2addr_b32 v24, v12, v8 offset1:208
	ds_store_2addr_b32 v15, v13, v11 offset1:208
	global_wb scope:SCOPE_SE
	s_wait_dscnt 0x0
	s_barrier_signal -1
	s_barrier_wait -1
	global_inv scope:SCOPE_SE
	s_wait_alu 0xfffe
	s_and_saveexec_b32 s11, s10
	s_cbranch_execz .LBB0_20
; %bb.19:
	v_add_nc_u32_e32 v46, 52, v28
	v_mad_co_u64_u32 v[40:41], null, s2, v28, 0
	v_and_b32_e32 v0, 0xf8, v0
	v_lshrrev_b16 v2, 12, v7
	s_load_b64 s[0:1], s[0:1], 0x8
	v_mul_lo_u32 v11, v1, v28
	v_mad_co_u64_u32 v[38:39], null, s4, v27, 0
	global_load_b64 v[7:8], v0, s[12:13] offset:400
	v_mul_lo_u32 v0, v1, v46
	v_mul_lo_u16 v2, v2, 52
	v_add_nc_u32_e32 v47, 0x600, v9
	v_and_b32_e32 v12, 0xff, v11
	v_lshrrev_b32_e32 v21, 13, v11
	s_delay_alu instid0(VALU_DEP_4)
	v_sub_nc_u16 v2, v29, v2
	v_lshrrev_b32_e32 v11, 5, v11
	v_and_b32_e32 v13, 0xff, v0
	v_lshrrev_b32_e32 v22, 13, v0
	v_lshrrev_b32_e32 v0, 5, v0
	v_and_b32_e32 v44, 0xff, v2
	v_lshlrev_b32_e32 v2, 3, v12
	v_lshlrev_b32_e32 v15, 3, v13
	v_and_b32_e32 v14, 0x7f8, v11
	v_and_b32_e32 v0, 0x7f8, v0
	v_lshlrev_b32_e32 v19, 3, v44
	s_wait_kmcnt 0x0
	s_clause 0x3
	global_load_b64 v[11:12], v2, s[0:1]
	global_load_b64 v[13:14], v14, s[0:1] offset:2048
	global_load_b64 v[15:16], v15, s[0:1]
	global_load_b64 v[17:18], v0, s[0:1] offset:2048
	v_add_nc_u32_e32 v0, 52, v44
	global_load_b64 v[19:20], v19, s[12:13] offset:400
	v_mul_lo_u32 v2, v1, v44
	v_and_b32_e32 v21, 0x7f8, v21
	v_and_b32_e32 v22, 0x7f8, v22
	v_mul_lo_u32 v34, v1, v0
	s_clause 0x1
	global_load_b64 v[0:1], v21, s[0:1] offset:4096
	global_load_b64 v[21:22], v22, s[0:1] offset:4096
	v_and_b32_e32 v23, 0xff, v2
	v_lshrrev_b32_e32 v24, 5, v2
	v_lshrrev_b32_e32 v2, 13, v2
	v_and_b32_e32 v30, 0xff, v34
	v_lshrrev_b32_e32 v31, 5, v34
	v_lshlrev_b32_e32 v23, 3, v23
	v_and_b32_e32 v25, 0x7f8, v24
	s_clause 0x1
	global_load_b64 v[23:24], v23, s[0:1]
	global_load_b64 v[25:26], v25, s[0:1] offset:2048
	v_lshlrev_b32_e32 v30, 3, v30
	v_and_b32_e32 v32, 0x7f8, v31
	s_clause 0x1
	global_load_b64 v[30:31], v30, s[0:1]
	global_load_b64 v[32:33], v32, s[0:1] offset:2048
	v_lshrrev_b32_e32 v34, 13, v34
	v_and_b32_e32 v2, 0x7f8, v2
	s_delay_alu instid0(VALU_DEP_2)
	v_and_b32_e32 v36, 0x7f8, v34
	s_clause 0x1
	global_load_b64 v[34:35], v2, s[0:1] offset:4096
	global_load_b64 v[36:37], v36, s[0:1] offset:4096
	v_mov_b32_e32 v2, v39
	v_sub_nc_u32_e32 v39, v29, v44
	ds_load_b32 v48, v10
	ds_load_b32 v49, v9
	v_mov_b32_e32 v9, v41
	s_lshl_b64 s[0:1], s[6:7], 3
	v_mad_co_u64_u32 v[44:45], null, s5, v27, v[2:3]
	v_add_nc_u32_e32 v50, v39, v29
	s_delay_alu instid0(VALU_DEP_3) | instskip(SKIP_1) | instid1(VALU_DEP_2)
	v_mad_co_u64_u32 v[9:10], null, s3, v28, v[9:10]
	s_add_nc_u64 s[0:1], s[8:9], s[0:1]
	v_add_nc_u32_e32 v51, 52, v50
	s_delay_alu instid0(VALU_DEP_4) | instskip(SKIP_1) | instid1(VALU_DEP_4)
	v_mov_b32_e32 v39, v44
	v_mad_co_u64_u32 v[42:43], null, s2, v46, 0
	v_mov_b32_e32 v41, v9
	s_delay_alu instid0(VALU_DEP_4) | instskip(NEXT) | instid1(VALU_DEP_4)
	v_mad_co_u64_u32 v[9:10], null, s2, v51, 0
	v_lshlrev_b64_e32 v[38:39], 3, v[38:39]
	s_delay_alu instid0(VALU_DEP_3) | instskip(SKIP_1) | instid1(VALU_DEP_1)
	v_lshlrev_b64_e32 v[40:41], 3, v[40:41]
	v_mov_b32_e32 v2, v43
	v_mad_co_u64_u32 v[27:28], null, s3, v46, v[2:3]
	v_mad_co_u64_u32 v[45:46], null, s2, v50, 0
	ds_load_2addr_b32 v[28:29], v47 offset0:32 offset1:240
	v_mov_b32_e32 v43, v27
	v_add_co_u32 v27, vcc_lo, s0, v38
	v_mov_b32_e32 v2, v46
	s_delay_alu instid0(VALU_DEP_3) | instskip(NEXT) | instid1(VALU_DEP_2)
	v_lshlrev_b64_e32 v[42:43], 3, v[42:43]
	v_mad_co_u64_u32 v[46:47], null, s3, v50, v[2:3]
	v_mov_b32_e32 v2, v10
	s_wait_alu 0xfffd
	v_add_co_ci_u32_e32 v47, vcc_lo, s1, v39, vcc_lo
	s_delay_alu instid0(VALU_DEP_2) | instskip(SKIP_4) | instid1(VALU_DEP_4)
	v_mad_co_u64_u32 v[38:39], null, s3, v51, v[2:3]
	v_add_co_u32 v39, vcc_lo, v27, v40
	v_lshlrev_b64_e32 v[44:45], 3, v[45:46]
	s_wait_alu 0xfffd
	v_add_co_ci_u32_e32 v40, vcc_lo, v47, v41, vcc_lo
	v_mov_b32_e32 v10, v38
	s_wait_loadcnt 0xd
	v_mul_f32_e32 v2, v3, v8
	s_wait_dscnt 0x0
	v_mul_f32_e32 v50, v28, v8
	s_delay_alu instid0(VALU_DEP_2) | instskip(SKIP_1) | instid1(VALU_DEP_3)
	v_fma_f32 v28, v28, v7, -v2
	v_add_co_u32 v2, vcc_lo, v27, v42
	v_fmac_f32_e32 v50, v3, v7
	s_wait_alu 0xfffd
	v_add_co_ci_u32_e32 v3, vcc_lo, v47, v43, vcc_lo
	v_sub_f32_e32 v28, v49, v28
	v_lshlrev_b64_e32 v[7:8], 3, v[9:10]
	v_add_co_u32 v9, vcc_lo, v27, v44
	s_wait_alu 0xfffd
	v_add_co_ci_u32_e32 v10, vcc_lo, v47, v45, vcc_lo
	v_fma_f32 v41, v49, 2.0, -v28
	s_wait_loadcnt 0xb
	v_mul_f32_e32 v42, v12, v14
	v_mul_f32_e32 v14, v11, v14
	s_wait_loadcnt 0x9
	v_mul_f32_e32 v43, v16, v18
	s_wait_loadcnt 0x8
	v_mul_f32_e32 v44, v4, v20
	v_mul_f32_e32 v20, v29, v20
	;; [unrolled: 1-line block ×3, first 2 shown]
	v_fma_f32 v11, v11, v13, -v42
	v_fmac_f32_e32 v14, v12, v13
	v_fma_f32 v12, v15, v17, -v43
	v_fmac_f32_e32 v20, v4, v19
	v_fmac_f32_e32 v18, v16, v17
	v_fma_f32 v13, v29, v19, -v44
	s_wait_loadcnt 0x7
	v_mul_f32_e32 v4, v14, v1
	v_mul_f32_e32 v1, v11, v1
	v_dual_sub_f32 v19, v5, v20 :: v_dual_sub_f32 v38, v6, v50
	s_wait_loadcnt 0x6
	v_mul_f32_e32 v15, v18, v22
	v_mul_f32_e32 v16, v12, v22
	v_fmac_f32_e32 v1, v0, v14
	v_fma_f32 v11, v0, v11, -v4
	v_fma_f32 v6, v6, 2.0, -v38
	v_fma_f32 v12, v21, v12, -v15
	s_wait_loadcnt 0x4
	v_mul_f32_e32 v4, v24, v26
	v_fmac_f32_e32 v16, v21, v18
	v_fma_f32 v15, v5, 2.0, -v19
	v_mul_f32_e32 v5, v6, v1
	v_mul_f32_e32 v0, v41, v1
	v_fma_f32 v20, v23, v25, -v4
	s_wait_loadcnt 0x2
	v_mul_f32_e32 v1, v31, v33
	v_mul_f32_e32 v18, v30, v33
	;; [unrolled: 1-line block ×4, first 2 shown]
	v_sub_f32_e32 v17, v48, v13
	v_fma_f32 v16, v30, v32, -v1
	v_mul_f32_e32 v13, v23, v26
	v_fmac_f32_e32 v18, v31, v32
	v_fmac_f32_e32 v0, v6, v11
	s_wait_loadcnt 0x1
	v_mul_f32_e32 v22, v20, v35
	s_wait_loadcnt 0x0
	v_mul_f32_e32 v6, v16, v37
	v_fmac_f32_e32 v13, v24, v25
	v_mul_f32_e32 v23, v18, v37
	v_fma_f32 v14, v48, 2.0, -v17
	v_fma_f32 v1, v41, v11, -v5
	s_delay_alu instid0(VALU_DEP_4) | instskip(SKIP_3) | instid1(VALU_DEP_4)
	v_dual_fmac_f32 v6, v36, v18 :: v_dual_mul_f32 v11, v13, v35
	v_fmac_f32_e32 v22, v34, v13
	v_fma_f32 v16, v36, v16, -v23
	v_fma_f32 v5, v28, v12, -v21
	v_mul_f32_e32 v13, v17, v6
	v_fma_f32 v18, v34, v20, -v11
	v_mul_f32_e32 v20, v15, v22
	v_mul_f32_e32 v11, v14, v22
	;; [unrolled: 1-line block ×3, first 2 shown]
	v_fmac_f32_e32 v13, v19, v16
	v_fmac_f32_e32 v4, v38, v12
	v_add_co_u32 v6, vcc_lo, v27, v7
	v_fma_f32 v12, v14, v18, -v20
	v_fmac_f32_e32 v11, v15, v18
	v_fma_f32 v14, v17, v16, -v21
	s_wait_alu 0xfffd
	v_add_co_ci_u32_e32 v7, vcc_lo, v47, v8, vcc_lo
	s_clause 0x3
	global_store_b64 v[39:40], v[0:1], off
	global_store_b64 v[2:3], v[4:5], off
	;; [unrolled: 1-line block ×4, first 2 shown]
.LBB0_20:
	s_nop 0
	s_sendmsg sendmsg(MSG_DEALLOC_VGPRS)
	s_endpgm
	.section	.rodata,"a",@progbits
	.p2align	6, 0x0
	.amdhsa_kernel fft_rtc_back_len104_factors_2_13_2_2_wgs_208_tpt_26_halfLds_dim2_sp_ip_CI_sbcc_twdbase8_3step_dirReg
		.amdhsa_group_segment_fixed_size 0
		.amdhsa_private_segment_fixed_size 0
		.amdhsa_kernarg_size 88
		.amdhsa_user_sgpr_count 2
		.amdhsa_user_sgpr_dispatch_ptr 0
		.amdhsa_user_sgpr_queue_ptr 0
		.amdhsa_user_sgpr_kernarg_segment_ptr 1
		.amdhsa_user_sgpr_dispatch_id 0
		.amdhsa_user_sgpr_private_segment_size 0
		.amdhsa_wavefront_size32 1
		.amdhsa_uses_dynamic_stack 0
		.amdhsa_enable_private_segment 0
		.amdhsa_system_sgpr_workgroup_id_x 1
		.amdhsa_system_sgpr_workgroup_id_y 0
		.amdhsa_system_sgpr_workgroup_id_z 0
		.amdhsa_system_sgpr_workgroup_info 0
		.amdhsa_system_vgpr_workitem_id 0
		.amdhsa_next_free_vgpr 73
		.amdhsa_next_free_sgpr 19
		.amdhsa_reserve_vcc 1
		.amdhsa_float_round_mode_32 0
		.amdhsa_float_round_mode_16_64 0
		.amdhsa_float_denorm_mode_32 3
		.amdhsa_float_denorm_mode_16_64 3
		.amdhsa_fp16_overflow 0
		.amdhsa_workgroup_processor_mode 1
		.amdhsa_memory_ordered 1
		.amdhsa_forward_progress 0
		.amdhsa_round_robin_scheduling 0
		.amdhsa_exception_fp_ieee_invalid_op 0
		.amdhsa_exception_fp_denorm_src 0
		.amdhsa_exception_fp_ieee_div_zero 0
		.amdhsa_exception_fp_ieee_overflow 0
		.amdhsa_exception_fp_ieee_underflow 0
		.amdhsa_exception_fp_ieee_inexact 0
		.amdhsa_exception_int_div_zero 0
	.end_amdhsa_kernel
	.text
.Lfunc_end0:
	.size	fft_rtc_back_len104_factors_2_13_2_2_wgs_208_tpt_26_halfLds_dim2_sp_ip_CI_sbcc_twdbase8_3step_dirReg, .Lfunc_end0-fft_rtc_back_len104_factors_2_13_2_2_wgs_208_tpt_26_halfLds_dim2_sp_ip_CI_sbcc_twdbase8_3step_dirReg
                                        ; -- End function
	.section	.AMDGPU.csdata,"",@progbits
; Kernel info:
; codeLenInByte = 6792
; NumSgprs: 21
; NumVgprs: 73
; ScratchSize: 0
; MemoryBound: 0
; FloatMode: 240
; IeeeMode: 1
; LDSByteSize: 0 bytes/workgroup (compile time only)
; SGPRBlocks: 2
; VGPRBlocks: 9
; NumSGPRsForWavesPerEU: 21
; NumVGPRsForWavesPerEU: 73
; Occupancy: 16
; WaveLimiterHint : 1
; COMPUTE_PGM_RSRC2:SCRATCH_EN: 0
; COMPUTE_PGM_RSRC2:USER_SGPR: 2
; COMPUTE_PGM_RSRC2:TRAP_HANDLER: 0
; COMPUTE_PGM_RSRC2:TGID_X_EN: 1
; COMPUTE_PGM_RSRC2:TGID_Y_EN: 0
; COMPUTE_PGM_RSRC2:TGID_Z_EN: 0
; COMPUTE_PGM_RSRC2:TIDIG_COMP_CNT: 0
	.text
	.p2alignl 7, 3214868480
	.fill 96, 4, 3214868480
	.type	__hip_cuid_b339f444f283f9d4,@object ; @__hip_cuid_b339f444f283f9d4
	.section	.bss,"aw",@nobits
	.globl	__hip_cuid_b339f444f283f9d4
__hip_cuid_b339f444f283f9d4:
	.byte	0                               ; 0x0
	.size	__hip_cuid_b339f444f283f9d4, 1

	.ident	"AMD clang version 19.0.0git (https://github.com/RadeonOpenCompute/llvm-project roc-6.4.0 25133 c7fe45cf4b819c5991fe208aaa96edf142730f1d)"
	.section	".note.GNU-stack","",@progbits
	.addrsig
	.addrsig_sym __hip_cuid_b339f444f283f9d4
	.amdgpu_metadata
---
amdhsa.kernels:
  - .args:
      - .actual_access:  read_only
        .address_space:  global
        .offset:         0
        .size:           8
        .value_kind:     global_buffer
      - .address_space:  global
        .offset:         8
        .size:           8
        .value_kind:     global_buffer
      - .actual_access:  read_only
        .address_space:  global
        .offset:         16
        .size:           8
        .value_kind:     global_buffer
      - .actual_access:  read_only
        .address_space:  global
        .offset:         24
        .size:           8
        .value_kind:     global_buffer
      - .offset:         32
        .size:           8
        .value_kind:     by_value
      - .actual_access:  read_only
        .address_space:  global
        .offset:         40
        .size:           8
        .value_kind:     global_buffer
      - .actual_access:  read_only
        .address_space:  global
        .offset:         48
        .size:           8
        .value_kind:     global_buffer
      - .offset:         56
        .size:           4
        .value_kind:     by_value
      - .actual_access:  read_only
        .address_space:  global
        .offset:         64
        .size:           8
        .value_kind:     global_buffer
      - .actual_access:  read_only
        .address_space:  global
        .offset:         72
        .size:           8
        .value_kind:     global_buffer
      - .address_space:  global
        .offset:         80
        .size:           8
        .value_kind:     global_buffer
    .group_segment_fixed_size: 0
    .kernarg_segment_align: 8
    .kernarg_segment_size: 88
    .language:       OpenCL C
    .language_version:
      - 2
      - 0
    .max_flat_workgroup_size: 208
    .name:           fft_rtc_back_len104_factors_2_13_2_2_wgs_208_tpt_26_halfLds_dim2_sp_ip_CI_sbcc_twdbase8_3step_dirReg
    .private_segment_fixed_size: 0
    .sgpr_count:     21
    .sgpr_spill_count: 0
    .symbol:         fft_rtc_back_len104_factors_2_13_2_2_wgs_208_tpt_26_halfLds_dim2_sp_ip_CI_sbcc_twdbase8_3step_dirReg.kd
    .uniform_work_group_size: 1
    .uses_dynamic_stack: false
    .vgpr_count:     73
    .vgpr_spill_count: 0
    .wavefront_size: 32
    .workgroup_processor_mode: 1
amdhsa.target:   amdgcn-amd-amdhsa--gfx1201
amdhsa.version:
  - 1
  - 2
...

	.end_amdgpu_metadata
